;; amdgpu-corpus repo=ROCm/rocm-examples kind=compiled arch=gfx906 opt=O3
	.amdgcn_target "amdgcn-amd-amdhsa--gfx906"
	.amdhsa_code_object_version 6
	.section	.text._Z12block_reduceILj32EEvPiPNSt11conditionalIXeqT_Li32EEjmE4typeES0_m,"axG",@progbits,_Z12block_reduceILj32EEvPiPNSt11conditionalIXeqT_Li32EEjmE4typeES0_m,comdat
	.protected	_Z12block_reduceILj32EEvPiPNSt11conditionalIXeqT_Li32EEjmE4typeES0_m ; -- Begin function _Z12block_reduceILj32EEvPiPNSt11conditionalIXeqT_Li32EEjmE4typeES0_m
	.globl	_Z12block_reduceILj32EEvPiPNSt11conditionalIXeqT_Li32EEjmE4typeES0_m
	.p2align	8
	.type	_Z12block_reduceILj32EEvPiPNSt11conditionalIXeqT_Li32EEjmE4typeES0_m,@function
_Z12block_reduceILj32EEvPiPNSt11conditionalIXeqT_Li32EEjmE4typeES0_m: ; @_Z12block_reduceILj32EEvPiPNSt11conditionalIXeqT_Li32EEjmE4typeES0_m
; %bb.0:
	s_load_dword s0, s[4:5], 0x2c
	s_load_dwordx8 s[8:15], s[4:5], 0x0
	v_mov_b32_e32 v2, 0
	v_mov_b32_e32 v4, v2
	s_waitcnt lgkmcnt(0)
	s_and_b32 s4, s0, 0xffff
	s_mul_i32 s0, s6, s4
	v_add_u32_e32 v1, s0, v0
	v_cmp_gt_u64_e32 vcc, s[14:15], v[1:2]
	s_and_saveexec_b64 s[0:1], vcc
	s_cbranch_execz .LBB0_4
; %bb.1:
	s_lshr_b32 s2, s4, 5
	s_mul_i32 s2, s2, s6
	v_lshrrev_b32_e32 v3, 5, v0
	v_add_u32_e32 v3, s2, v3
	v_mov_b32_e32 v4, 0
	v_lshlrev_b64 v[5:6], 2, v[3:4]
	v_mov_b32_e32 v3, s11
	v_add_co_u32_e32 v5, vcc, s10, v5
	v_addc_co_u32_e32 v6, vcc, v3, v6, vcc
	global_load_dword v3, v[5:6], off
	s_waitcnt vmcnt(0)
	v_lshrrev_b32_e32 v3, v0, v3
	v_and_b32_e32 v3, 1, v3
	v_cmp_eq_u32_e32 vcc, 1, v3
	s_and_saveexec_b64 s[2:3], vcc
	s_cbranch_execz .LBB0_3
; %bb.2:
	v_lshlrev_b64 v[1:2], 2, v[1:2]
	v_mov_b32_e32 v3, s9
	v_add_co_u32_e32 v1, vcc, s8, v1
	v_addc_co_u32_e32 v2, vcc, v3, v2, vcc
	global_load_dword v4, v[1:2], off
.LBB0_3:
	s_or_b64 exec, exec, s[2:3]
.LBB0_4:
	s_or_b64 exec, exec, s[0:1]
	v_lshl_add_u32 v1, v0, 2, 0
	s_cmp_lt_u32 s4, 64
	s_waitcnt vmcnt(0)
	ds_write_b32 v1, v4
	s_waitcnt lgkmcnt(0)
	s_barrier
	s_cbranch_scc0 .LBB0_9
.LBB0_5:
	v_mbcnt_lo_u32_b32 v2, -1, 0
	ds_read_b32 v1, v1
	v_mbcnt_hi_u32_b32 v2, -1, v2
	v_and_b32_e32 v3, 63, v2
	v_cmp_gt_u32_e32 vcc, 48, v3
	v_cndmask_b32_e64 v4, 0, 16, vcc
	v_add_lshl_u32 v4, v4, v2, 2
	s_waitcnt lgkmcnt(0)
	ds_bpermute_b32 v4, v4, v1
	v_cmp_gt_u32_e32 vcc, 56, v3
	v_cndmask_b32_e64 v5, 0, 8, vcc
	v_cmp_gt_u32_e32 vcc, 60, v3
	s_waitcnt lgkmcnt(0)
	v_add_u32_e32 v1, v4, v1
	v_add_lshl_u32 v4, v5, v2, 2
	ds_bpermute_b32 v4, v4, v1
	v_cndmask_b32_e64 v5, 0, 4, vcc
	v_add_lshl_u32 v5, v5, v2, 2
	v_cmp_gt_u32_e32 vcc, 62, v3
	s_waitcnt lgkmcnt(0)
	s_barrier
	v_add_u32_e32 v1, v4, v1
	ds_bpermute_b32 v4, v5, v1
	v_cndmask_b32_e64 v5, 0, 2, vcc
	v_add_lshl_u32 v5, v5, v2, 2
	v_cmp_ne_u32_e32 vcc, 63, v3
	v_addc_co_u32_e32 v2, vcc, 0, v2, vcc
	s_waitcnt lgkmcnt(0)
	v_add_u32_e32 v1, v4, v1
	ds_bpermute_b32 v4, v5, v1
	v_lshlrev_b32_e32 v2, 2, v2
	v_cmp_eq_u32_e32 vcc, 0, v0
	s_waitcnt lgkmcnt(0)
	v_add_u32_e32 v1, v4, v1
	ds_bpermute_b32 v2, v2, v1
	s_and_saveexec_b64 s[0:1], vcc
	s_cbranch_execz .LBB0_7
; %bb.6:
	s_mov_b32 s7, 0
	s_lshl_b64 s[0:1], s[6:7], 2
	s_add_u32 s0, s12, s0
	s_waitcnt lgkmcnt(0)
	v_add_u32_e32 v0, v2, v1
	s_addc_u32 s1, s13, s1
	v_mov_b32_e32 v1, 0
	global_store_dword v1, v0, s[0:1]
.LBB0_7:
	s_endpgm
.LBB0_8:                                ;   in Loop: Header=BB0_9 Depth=1
	s_or_b64 exec, exec, s[0:1]
	s_cmpk_lt_u32 s4, 0x80
	s_mov_b32 s4, s2
	s_waitcnt lgkmcnt(0)
	s_barrier
	s_cbranch_scc1 .LBB0_5
.LBB0_9:                                ; =>This Inner Loop Header: Depth=1
	s_lshr_b32 s2, s4, 1
	v_cmp_gt_u32_e32 vcc, s2, v0
	s_and_saveexec_b64 s[0:1], vcc
	s_cbranch_execz .LBB0_8
; %bb.10:                               ;   in Loop: Header=BB0_9 Depth=1
	v_lshl_add_u32 v2, s2, 2, v1
	ds_read_b32 v3, v1
	ds_read_b32 v2, v2
	s_waitcnt lgkmcnt(0)
	v_add_u32_e32 v2, v2, v3
	ds_write_b32 v1, v2
	s_branch .LBB0_8
	.section	.rodata,"a",@progbits
	.p2align	6, 0x0
	.amdhsa_kernel _Z12block_reduceILj32EEvPiPNSt11conditionalIXeqT_Li32EEjmE4typeES0_m
		.amdhsa_group_segment_fixed_size 0
		.amdhsa_private_segment_fixed_size 0
		.amdhsa_kernarg_size 288
		.amdhsa_user_sgpr_count 6
		.amdhsa_user_sgpr_private_segment_buffer 1
		.amdhsa_user_sgpr_dispatch_ptr 0
		.amdhsa_user_sgpr_queue_ptr 0
		.amdhsa_user_sgpr_kernarg_segment_ptr 1
		.amdhsa_user_sgpr_dispatch_id 0
		.amdhsa_user_sgpr_flat_scratch_init 0
		.amdhsa_user_sgpr_private_segment_size 0
		.amdhsa_uses_dynamic_stack 0
		.amdhsa_system_sgpr_private_segment_wavefront_offset 0
		.amdhsa_system_sgpr_workgroup_id_x 1
		.amdhsa_system_sgpr_workgroup_id_y 0
		.amdhsa_system_sgpr_workgroup_id_z 0
		.amdhsa_system_sgpr_workgroup_info 0
		.amdhsa_system_vgpr_workitem_id 0
		.amdhsa_next_free_vgpr 7
		.amdhsa_next_free_sgpr 16
		.amdhsa_reserve_vcc 1
		.amdhsa_reserve_flat_scratch 0
		.amdhsa_float_round_mode_32 0
		.amdhsa_float_round_mode_16_64 0
		.amdhsa_float_denorm_mode_32 3
		.amdhsa_float_denorm_mode_16_64 3
		.amdhsa_dx10_clamp 1
		.amdhsa_ieee_mode 1
		.amdhsa_fp16_overflow 0
		.amdhsa_exception_fp_ieee_invalid_op 0
		.amdhsa_exception_fp_denorm_src 0
		.amdhsa_exception_fp_ieee_div_zero 0
		.amdhsa_exception_fp_ieee_overflow 0
		.amdhsa_exception_fp_ieee_underflow 0
		.amdhsa_exception_fp_ieee_inexact 0
		.amdhsa_exception_int_div_zero 0
	.end_amdhsa_kernel
	.section	.text._Z12block_reduceILj32EEvPiPNSt11conditionalIXeqT_Li32EEjmE4typeES0_m,"axG",@progbits,_Z12block_reduceILj32EEvPiPNSt11conditionalIXeqT_Li32EEjmE4typeES0_m,comdat
.Lfunc_end0:
	.size	_Z12block_reduceILj32EEvPiPNSt11conditionalIXeqT_Li32EEjmE4typeES0_m, .Lfunc_end0-_Z12block_reduceILj32EEvPiPNSt11conditionalIXeqT_Li32EEjmE4typeES0_m
                                        ; -- End function
	.set _Z12block_reduceILj32EEvPiPNSt11conditionalIXeqT_Li32EEjmE4typeES0_m.num_vgpr, 7
	.set _Z12block_reduceILj32EEvPiPNSt11conditionalIXeqT_Li32EEjmE4typeES0_m.num_agpr, 0
	.set _Z12block_reduceILj32EEvPiPNSt11conditionalIXeqT_Li32EEjmE4typeES0_m.numbered_sgpr, 16
	.set _Z12block_reduceILj32EEvPiPNSt11conditionalIXeqT_Li32EEjmE4typeES0_m.num_named_barrier, 0
	.set _Z12block_reduceILj32EEvPiPNSt11conditionalIXeqT_Li32EEjmE4typeES0_m.private_seg_size, 0
	.set _Z12block_reduceILj32EEvPiPNSt11conditionalIXeqT_Li32EEjmE4typeES0_m.uses_vcc, 1
	.set _Z12block_reduceILj32EEvPiPNSt11conditionalIXeqT_Li32EEjmE4typeES0_m.uses_flat_scratch, 0
	.set _Z12block_reduceILj32EEvPiPNSt11conditionalIXeqT_Li32EEjmE4typeES0_m.has_dyn_sized_stack, 0
	.set _Z12block_reduceILj32EEvPiPNSt11conditionalIXeqT_Li32EEjmE4typeES0_m.has_recursion, 0
	.set _Z12block_reduceILj32EEvPiPNSt11conditionalIXeqT_Li32EEjmE4typeES0_m.has_indirect_call, 0
	.section	.AMDGPU.csdata,"",@progbits
; Kernel info:
; codeLenInByte = 536
; TotalNumSgprs: 20
; NumVgprs: 7
; ScratchSize: 0
; MemoryBound: 0
; FloatMode: 240
; IeeeMode: 1
; LDSByteSize: 0 bytes/workgroup (compile time only)
; SGPRBlocks: 2
; VGPRBlocks: 1
; NumSGPRsForWavesPerEU: 20
; NumVGPRsForWavesPerEU: 7
; Occupancy: 10
; WaveLimiterHint : 0
; COMPUTE_PGM_RSRC2:SCRATCH_EN: 0
; COMPUTE_PGM_RSRC2:USER_SGPR: 6
; COMPUTE_PGM_RSRC2:TRAP_HANDLER: 0
; COMPUTE_PGM_RSRC2:TGID_X_EN: 1
; COMPUTE_PGM_RSRC2:TGID_Y_EN: 0
; COMPUTE_PGM_RSRC2:TGID_Z_EN: 0
; COMPUTE_PGM_RSRC2:TIDIG_COMP_CNT: 0
	.section	.text._Z12block_reduceILj64EEvPiPNSt11conditionalIXeqT_Li32EEjmE4typeES0_m,"axG",@progbits,_Z12block_reduceILj64EEvPiPNSt11conditionalIXeqT_Li32EEjmE4typeES0_m,comdat
	.protected	_Z12block_reduceILj64EEvPiPNSt11conditionalIXeqT_Li32EEjmE4typeES0_m ; -- Begin function _Z12block_reduceILj64EEvPiPNSt11conditionalIXeqT_Li32EEjmE4typeES0_m
	.globl	_Z12block_reduceILj64EEvPiPNSt11conditionalIXeqT_Li32EEjmE4typeES0_m
	.p2align	8
	.type	_Z12block_reduceILj64EEvPiPNSt11conditionalIXeqT_Li32EEjmE4typeES0_m,@function
_Z12block_reduceILj64EEvPiPNSt11conditionalIXeqT_Li32EEjmE4typeES0_m: ; @_Z12block_reduceILj64EEvPiPNSt11conditionalIXeqT_Li32EEjmE4typeES0_m
; %bb.0:
	s_load_dword s0, s[4:5], 0x2c
	s_load_dwordx8 s[8:15], s[4:5], 0x0
	v_mov_b32_e32 v2, 0
	v_mov_b32_e32 v4, v2
	s_waitcnt lgkmcnt(0)
	s_and_b32 s4, s0, 0xffff
	s_mul_i32 s0, s6, s4
	v_add_u32_e32 v1, s0, v0
	v_cmp_gt_u64_e32 vcc, s[14:15], v[1:2]
	s_and_saveexec_b64 s[0:1], vcc
	s_cbranch_execz .LBB1_4
; %bb.1:
	s_lshr_b32 s2, s4, 6
	s_mul_i32 s2, s2, s6
	v_lshrrev_b32_e32 v3, 6, v0
	v_add_u32_e32 v3, s2, v3
	v_mov_b32_e32 v4, 0
	v_lshlrev_b64 v[5:6], 3, v[3:4]
	v_mov_b32_e32 v3, s11
	v_add_co_u32_e32 v5, vcc, s10, v5
	v_addc_co_u32_e32 v6, vcc, v3, v6, vcc
	global_load_dwordx2 v[5:6], v[5:6], off
	s_waitcnt vmcnt(0)
	v_lshrrev_b64 v[5:6], v0, v[5:6]
	v_and_b32_e32 v3, 1, v5
	v_cmp_eq_u32_e32 vcc, 1, v3
	s_and_saveexec_b64 s[2:3], vcc
	s_cbranch_execz .LBB1_3
; %bb.2:
	v_lshlrev_b64 v[1:2], 2, v[1:2]
	v_mov_b32_e32 v3, s9
	v_add_co_u32_e32 v1, vcc, s8, v1
	v_addc_co_u32_e32 v2, vcc, v3, v2, vcc
	global_load_dword v4, v[1:2], off
.LBB1_3:
	s_or_b64 exec, exec, s[2:3]
.LBB1_4:
	s_or_b64 exec, exec, s[0:1]
	v_lshl_add_u32 v1, v0, 2, 0
	s_cmpk_lt_u32 s4, 0x80
	s_waitcnt vmcnt(0)
	ds_write_b32 v1, v4
	s_waitcnt lgkmcnt(0)
	s_barrier
	s_cbranch_scc0 .LBB1_9
.LBB1_5:
	ds_read_b32 v1, v1
	v_mbcnt_lo_u32_b32 v2, -1, 0
	v_mov_b32_e32 v3, 0x80
	v_mbcnt_hi_u32_b32 v2, -1, v2
	v_lshl_or_b32 v3, v2, 2, v3
	s_waitcnt lgkmcnt(0)
	ds_bpermute_b32 v3, v3, v1
	v_and_b32_e32 v4, 63, v2
	v_cmp_gt_u32_e32 vcc, 48, v4
	v_cndmask_b32_e64 v5, 0, 16, vcc
	v_add_lshl_u32 v5, v5, v2, 2
	s_waitcnt lgkmcnt(0)
	v_add_u32_e32 v1, v3, v1
	ds_bpermute_b32 v3, v5, v1
	v_cmp_gt_u32_e32 vcc, 56, v4
	v_cndmask_b32_e64 v5, 0, 8, vcc
	v_add_lshl_u32 v5, v5, v2, 2
	v_cmp_gt_u32_e32 vcc, 60, v4
	s_waitcnt lgkmcnt(0)
	v_add_u32_e32 v1, v3, v1
	ds_bpermute_b32 v3, v5, v1
	v_cndmask_b32_e64 v5, 0, 4, vcc
	v_add_lshl_u32 v5, v5, v2, 2
	v_cmp_gt_u32_e32 vcc, 62, v4
	s_waitcnt lgkmcnt(0)
	v_add_u32_e32 v1, v3, v1
	ds_bpermute_b32 v3, v5, v1
	v_cndmask_b32_e64 v5, 0, 2, vcc
	v_add_lshl_u32 v5, v5, v2, 2
	v_cmp_ne_u32_e32 vcc, 63, v4
	v_addc_co_u32_e32 v2, vcc, 0, v2, vcc
	s_waitcnt lgkmcnt(0)
	v_add_u32_e32 v1, v3, v1
	ds_bpermute_b32 v3, v5, v1
	v_lshlrev_b32_e32 v2, 2, v2
	v_cmp_eq_u32_e32 vcc, 0, v0
	s_waitcnt lgkmcnt(0)
	s_barrier
	v_add_u32_e32 v1, v3, v1
	ds_bpermute_b32 v2, v2, v1
	s_and_saveexec_b64 s[0:1], vcc
	s_cbranch_execz .LBB1_7
; %bb.6:
	s_mov_b32 s7, 0
	s_lshl_b64 s[0:1], s[6:7], 2
	s_add_u32 s0, s12, s0
	s_waitcnt lgkmcnt(0)
	v_add_u32_e32 v0, v2, v1
	s_addc_u32 s1, s13, s1
	v_mov_b32_e32 v1, 0
	global_store_dword v1, v0, s[0:1]
.LBB1_7:
	s_endpgm
.LBB1_8:                                ;   in Loop: Header=BB1_9 Depth=1
	s_or_b64 exec, exec, s[0:1]
	s_cmpk_lt_u32 s4, 0x100
	s_mov_b32 s4, s2
	s_waitcnt lgkmcnt(0)
	s_barrier
	s_cbranch_scc1 .LBB1_5
.LBB1_9:                                ; =>This Inner Loop Header: Depth=1
	s_lshr_b32 s2, s4, 1
	v_cmp_gt_u32_e32 vcc, s2, v0
	s_and_saveexec_b64 s[0:1], vcc
	s_cbranch_execz .LBB1_8
; %bb.10:                               ;   in Loop: Header=BB1_9 Depth=1
	v_lshl_add_u32 v2, s2, 2, v1
	ds_read_b32 v3, v1
	ds_read_b32 v2, v2
	s_waitcnt lgkmcnt(0)
	v_add_u32_e32 v2, v2, v3
	ds_write_b32 v1, v2
	s_branch .LBB1_8
	.section	.rodata,"a",@progbits
	.p2align	6, 0x0
	.amdhsa_kernel _Z12block_reduceILj64EEvPiPNSt11conditionalIXeqT_Li32EEjmE4typeES0_m
		.amdhsa_group_segment_fixed_size 0
		.amdhsa_private_segment_fixed_size 0
		.amdhsa_kernarg_size 288
		.amdhsa_user_sgpr_count 6
		.amdhsa_user_sgpr_private_segment_buffer 1
		.amdhsa_user_sgpr_dispatch_ptr 0
		.amdhsa_user_sgpr_queue_ptr 0
		.amdhsa_user_sgpr_kernarg_segment_ptr 1
		.amdhsa_user_sgpr_dispatch_id 0
		.amdhsa_user_sgpr_flat_scratch_init 0
		.amdhsa_user_sgpr_private_segment_size 0
		.amdhsa_uses_dynamic_stack 0
		.amdhsa_system_sgpr_private_segment_wavefront_offset 0
		.amdhsa_system_sgpr_workgroup_id_x 1
		.amdhsa_system_sgpr_workgroup_id_y 0
		.amdhsa_system_sgpr_workgroup_id_z 0
		.amdhsa_system_sgpr_workgroup_info 0
		.amdhsa_system_vgpr_workitem_id 0
		.amdhsa_next_free_vgpr 7
		.amdhsa_next_free_sgpr 16
		.amdhsa_reserve_vcc 1
		.amdhsa_reserve_flat_scratch 0
		.amdhsa_float_round_mode_32 0
		.amdhsa_float_round_mode_16_64 0
		.amdhsa_float_denorm_mode_32 3
		.amdhsa_float_denorm_mode_16_64 3
		.amdhsa_dx10_clamp 1
		.amdhsa_ieee_mode 1
		.amdhsa_fp16_overflow 0
		.amdhsa_exception_fp_ieee_invalid_op 0
		.amdhsa_exception_fp_denorm_src 0
		.amdhsa_exception_fp_ieee_div_zero 0
		.amdhsa_exception_fp_ieee_overflow 0
		.amdhsa_exception_fp_ieee_underflow 0
		.amdhsa_exception_fp_ieee_inexact 0
		.amdhsa_exception_int_div_zero 0
	.end_amdhsa_kernel
	.section	.text._Z12block_reduceILj64EEvPiPNSt11conditionalIXeqT_Li32EEjmE4typeES0_m,"axG",@progbits,_Z12block_reduceILj64EEvPiPNSt11conditionalIXeqT_Li32EEjmE4typeES0_m,comdat
.Lfunc_end1:
	.size	_Z12block_reduceILj64EEvPiPNSt11conditionalIXeqT_Li32EEjmE4typeES0_m, .Lfunc_end1-_Z12block_reduceILj64EEvPiPNSt11conditionalIXeqT_Li32EEjmE4typeES0_m
                                        ; -- End function
	.set _Z12block_reduceILj64EEvPiPNSt11conditionalIXeqT_Li32EEjmE4typeES0_m.num_vgpr, 7
	.set _Z12block_reduceILj64EEvPiPNSt11conditionalIXeqT_Li32EEjmE4typeES0_m.num_agpr, 0
	.set _Z12block_reduceILj64EEvPiPNSt11conditionalIXeqT_Li32EEjmE4typeES0_m.numbered_sgpr, 16
	.set _Z12block_reduceILj64EEvPiPNSt11conditionalIXeqT_Li32EEjmE4typeES0_m.num_named_barrier, 0
	.set _Z12block_reduceILj64EEvPiPNSt11conditionalIXeqT_Li32EEjmE4typeES0_m.private_seg_size, 0
	.set _Z12block_reduceILj64EEvPiPNSt11conditionalIXeqT_Li32EEjmE4typeES0_m.uses_vcc, 1
	.set _Z12block_reduceILj64EEvPiPNSt11conditionalIXeqT_Li32EEjmE4typeES0_m.uses_flat_scratch, 0
	.set _Z12block_reduceILj64EEvPiPNSt11conditionalIXeqT_Li32EEjmE4typeES0_m.has_dyn_sized_stack, 0
	.set _Z12block_reduceILj64EEvPiPNSt11conditionalIXeqT_Li32EEjmE4typeES0_m.has_recursion, 0
	.set _Z12block_reduceILj64EEvPiPNSt11conditionalIXeqT_Li32EEjmE4typeES0_m.has_indirect_call, 0
	.section	.AMDGPU.csdata,"",@progbits
; Kernel info:
; codeLenInByte = 572
; TotalNumSgprs: 20
; NumVgprs: 7
; ScratchSize: 0
; MemoryBound: 0
; FloatMode: 240
; IeeeMode: 1
; LDSByteSize: 0 bytes/workgroup (compile time only)
; SGPRBlocks: 2
; VGPRBlocks: 1
; NumSGPRsForWavesPerEU: 20
; NumVGPRsForWavesPerEU: 7
; Occupancy: 10
; WaveLimiterHint : 0
; COMPUTE_PGM_RSRC2:SCRATCH_EN: 0
; COMPUTE_PGM_RSRC2:USER_SGPR: 6
; COMPUTE_PGM_RSRC2:TRAP_HANDLER: 0
; COMPUTE_PGM_RSRC2:TGID_X_EN: 1
; COMPUTE_PGM_RSRC2:TGID_Y_EN: 0
; COMPUTE_PGM_RSRC2:TGID_Z_EN: 0
; COMPUTE_PGM_RSRC2:TIDIG_COMP_CNT: 0
	.section	.AMDGPU.gpr_maximums,"",@progbits
	.set amdgpu.max_num_vgpr, 0
	.set amdgpu.max_num_agpr, 0
	.set amdgpu.max_num_sgpr, 0
	.section	.AMDGPU.csdata,"",@progbits
	.type	__hip_cuid_342f89fbe80d4e1b,@object ; @__hip_cuid_342f89fbe80d4e1b
	.section	.bss,"aw",@nobits
	.globl	__hip_cuid_342f89fbe80d4e1b
__hip_cuid_342f89fbe80d4e1b:
	.byte	0                               ; 0x0
	.size	__hip_cuid_342f89fbe80d4e1b, 1

	.ident	"AMD clang version 22.0.0git (https://github.com/RadeonOpenCompute/llvm-project roc-7.2.4 26084 f58b06dce1f9c15707c5f808fd002e18c2accf7e)"
	.section	".note.GNU-stack","",@progbits
	.addrsig
	.addrsig_sym __hip_cuid_342f89fbe80d4e1b
	.amdgpu_metadata
---
amdhsa.kernels:
  - .args:
      - .address_space:  global
        .offset:         0
        .size:           8
        .value_kind:     global_buffer
      - .address_space:  global
        .offset:         8
        .size:           8
        .value_kind:     global_buffer
      - .address_space:  global
        .offset:         16
        .size:           8
        .value_kind:     global_buffer
      - .offset:         24
        .size:           8
        .value_kind:     by_value
      - .offset:         32
        .size:           4
        .value_kind:     hidden_block_count_x
      - .offset:         36
        .size:           4
        .value_kind:     hidden_block_count_y
      - .offset:         40
        .size:           4
        .value_kind:     hidden_block_count_z
      - .offset:         44
        .size:           2
        .value_kind:     hidden_group_size_x
      - .offset:         46
        .size:           2
        .value_kind:     hidden_group_size_y
      - .offset:         48
        .size:           2
        .value_kind:     hidden_group_size_z
      - .offset:         50
        .size:           2
        .value_kind:     hidden_remainder_x
      - .offset:         52
        .size:           2
        .value_kind:     hidden_remainder_y
      - .offset:         54
        .size:           2
        .value_kind:     hidden_remainder_z
      - .offset:         72
        .size:           8
        .value_kind:     hidden_global_offset_x
      - .offset:         80
        .size:           8
        .value_kind:     hidden_global_offset_y
      - .offset:         88
        .size:           8
        .value_kind:     hidden_global_offset_z
      - .offset:         96
        .size:           2
        .value_kind:     hidden_grid_dims
      - .offset:         152
        .size:           4
        .value_kind:     hidden_dynamic_lds_size
    .group_segment_fixed_size: 0
    .kernarg_segment_align: 8
    .kernarg_segment_size: 288
    .language:       OpenCL C
    .language_version:
      - 2
      - 0
    .max_flat_workgroup_size: 1024
    .name:           _Z12block_reduceILj32EEvPiPNSt11conditionalIXeqT_Li32EEjmE4typeES0_m
    .private_segment_fixed_size: 0
    .sgpr_count:     20
    .sgpr_spill_count: 0
    .symbol:         _Z12block_reduceILj32EEvPiPNSt11conditionalIXeqT_Li32EEjmE4typeES0_m.kd
    .uniform_work_group_size: 1
    .uses_dynamic_stack: false
    .vgpr_count:     7
    .vgpr_spill_count: 0
    .wavefront_size: 64
  - .args:
      - .address_space:  global
        .offset:         0
        .size:           8
        .value_kind:     global_buffer
      - .address_space:  global
        .offset:         8
        .size:           8
        .value_kind:     global_buffer
      - .address_space:  global
        .offset:         16
        .size:           8
        .value_kind:     global_buffer
      - .offset:         24
        .size:           8
        .value_kind:     by_value
      - .offset:         32
        .size:           4
        .value_kind:     hidden_block_count_x
      - .offset:         36
        .size:           4
        .value_kind:     hidden_block_count_y
      - .offset:         40
        .size:           4
        .value_kind:     hidden_block_count_z
      - .offset:         44
        .size:           2
        .value_kind:     hidden_group_size_x
      - .offset:         46
        .size:           2
        .value_kind:     hidden_group_size_y
      - .offset:         48
        .size:           2
        .value_kind:     hidden_group_size_z
      - .offset:         50
        .size:           2
        .value_kind:     hidden_remainder_x
      - .offset:         52
        .size:           2
        .value_kind:     hidden_remainder_y
      - .offset:         54
        .size:           2
        .value_kind:     hidden_remainder_z
      - .offset:         72
        .size:           8
        .value_kind:     hidden_global_offset_x
      - .offset:         80
        .size:           8
        .value_kind:     hidden_global_offset_y
      - .offset:         88
        .size:           8
        .value_kind:     hidden_global_offset_z
      - .offset:         96
        .size:           2
        .value_kind:     hidden_grid_dims
      - .offset:         152
        .size:           4
        .value_kind:     hidden_dynamic_lds_size
    .group_segment_fixed_size: 0
    .kernarg_segment_align: 8
    .kernarg_segment_size: 288
    .language:       OpenCL C
    .language_version:
      - 2
      - 0
    .max_flat_workgroup_size: 1024
    .name:           _Z12block_reduceILj64EEvPiPNSt11conditionalIXeqT_Li32EEjmE4typeES0_m
    .private_segment_fixed_size: 0
    .sgpr_count:     20
    .sgpr_spill_count: 0
    .symbol:         _Z12block_reduceILj64EEvPiPNSt11conditionalIXeqT_Li32EEjmE4typeES0_m.kd
    .uniform_work_group_size: 1
    .uses_dynamic_stack: false
    .vgpr_count:     7
    .vgpr_spill_count: 0
    .wavefront_size: 64
amdhsa.target:   amdgcn-amd-amdhsa--gfx906
amdhsa.version:
  - 1
  - 2
...

	.end_amdgpu_metadata
